;; amdgpu-corpus repo=ROCm/rocFFT kind=compiled arch=gfx1030 opt=O3
	.text
	.amdgcn_target "amdgcn-amd-amdhsa--gfx1030"
	.amdhsa_code_object_version 6
	.protected	bluestein_single_fwd_len660_dim1_dp_op_CI_CI ; -- Begin function bluestein_single_fwd_len660_dim1_dp_op_CI_CI
	.globl	bluestein_single_fwd_len660_dim1_dp_op_CI_CI
	.p2align	8
	.type	bluestein_single_fwd_len660_dim1_dp_op_CI_CI,@function
bluestein_single_fwd_len660_dim1_dp_op_CI_CI: ; @bluestein_single_fwd_len660_dim1_dp_op_CI_CI
; %bb.0:
	s_load_dwordx4 s[0:3], s[4:5], 0x28
	v_mul_u32_u24_e32 v1, 0x254, v0
	v_mov_b32_e32 v117, 0
	v_lshrrev_b32_e32 v1, 16, v1
	v_add_nc_u32_e32 v116, s6, v1
	s_waitcnt lgkmcnt(0)
	v_cmp_gt_u64_e32 vcc_lo, s[0:1], v[116:117]
	s_and_saveexec_b32 s0, vcc_lo
	s_cbranch_execz .LBB0_23
; %bb.1:
	s_clause 0x1
	s_load_dwordx2 s[14:15], s[4:5], 0x0
	s_load_dwordx2 s[12:13], s[4:5], 0x38
	v_mul_lo_u16 v1, 0x6e, v1
	v_sub_nc_u16 v0, v0, v1
	v_and_b32_e32 v238, 0xffff, v0
	v_cmp_gt_u16_e32 vcc_lo, 60, v0
	v_lshlrev_b32_e32 v237, 4, v238
	s_and_saveexec_b32 s1, vcc_lo
	s_cbranch_execz .LBB0_3
; %bb.2:
	s_load_dwordx2 s[6:7], s[4:5], 0x18
	s_waitcnt lgkmcnt(0)
	v_add_co_u32 v21, s0, s14, v237
	v_add_co_ci_u32_e64 v22, null, s15, 0, s0
	s_load_dwordx4 s[8:11], s[6:7], 0x0
	s_clause 0x2
	global_load_dwordx4 v[0:3], v237, s[14:15]
	global_load_dwordx4 v[4:7], v237, s[14:15] offset:960
	global_load_dwordx4 v[8:11], v237, s[14:15] offset:1920
	s_waitcnt lgkmcnt(0)
	v_mad_u64_u32 v[12:13], null, s10, v116, 0
	v_mad_u64_u32 v[14:15], null, s8, v238, 0
	s_mul_i32 s6, s9, 0x3c0
	s_mul_hi_u32 s7, s8, 0x3c0
	s_add_i32 s7, s7, s6
	v_mad_u64_u32 v[16:17], null, s11, v116, v[13:14]
	v_add_co_u32 v17, s0, 0x800, v21
	v_add_co_ci_u32_e64 v18, s0, 0, v22, s0
	v_add_co_u32 v24, s0, 0x1000, v21
	v_mad_u64_u32 v[19:20], null, s9, v238, v[15:16]
	v_mov_b32_e32 v13, v16
	v_add_co_ci_u32_e64 v25, s0, 0, v22, s0
	v_add_co_u32 v32, s0, 0x1800, v21
	v_lshlrev_b64 v[12:13], 4, v[12:13]
	v_mov_b32_e32 v15, v19
	v_add_co_ci_u32_e64 v33, s0, 0, v22, s0
	v_add_co_u32 v80, s0, 0x2000, v21
	v_add_co_ci_u32_e64 v81, s0, 0, v22, s0
	v_lshlrev_b64 v[14:15], 4, v[14:15]
	v_add_co_u32 v12, s0, s2, v12
	v_add_co_ci_u32_e64 v13, s0, s3, v13, s0
	s_mul_i32 s2, s8, 0x3c0
	v_add_co_u32 v36, s0, v12, v14
	v_add_co_ci_u32_e64 v37, s0, v13, v15, s0
	s_clause 0x1
	global_load_dwordx4 v[12:15], v[17:18], off offset:832
	global_load_dwordx4 v[16:19], v[17:18], off offset:1792
	v_add_co_u32 v40, s0, v36, s2
	v_add_co_ci_u32_e64 v41, s0, s7, v37, s0
	s_clause 0x1
	global_load_dwordx4 v[20:23], v[24:25], off offset:704
	global_load_dwordx4 v[24:27], v[24:25], off offset:1664
	;; [unrolled: 5-line block ×3, first 2 shown]
	v_add_co_u32 v48, s0, v44, s2
	v_add_co_ci_u32_e64 v49, s0, s7, v45, s0
	s_clause 0x1
	global_load_dwordx4 v[36:39], v[36:37], off
	global_load_dwordx4 v[40:43], v[40:41], off
	v_add_co_u32 v52, s0, v48, s2
	v_add_co_ci_u32_e64 v53, s0, s7, v49, s0
	s_clause 0x1
	global_load_dwordx4 v[44:47], v[44:45], off
	global_load_dwordx4 v[48:51], v[48:49], off
	v_add_co_u32 v56, s0, v52, s2
	v_add_co_ci_u32_e64 v57, s0, s7, v53, s0
	global_load_dwordx4 v[52:55], v[52:53], off
	v_add_co_u32 v60, s0, v56, s2
	v_add_co_ci_u32_e64 v61, s0, s7, v57, s0
	;; [unrolled: 3-line block ×5, first 2 shown]
	v_add_co_u32 v84, s0, v72, s2
	v_add_co_ci_u32_e64 v85, s0, s7, v73, s0
	global_load_dwordx4 v[68:71], v[68:69], off
	global_load_dwordx4 v[72:75], v[72:73], off
	s_clause 0x1
	global_load_dwordx4 v[76:79], v[80:81], off offset:448
	global_load_dwordx4 v[80:83], v[80:81], off offset:1408
	global_load_dwordx4 v[84:87], v[84:85], off
	s_waitcnt vmcnt(12)
	v_mul_f64 v[88:89], v[38:39], v[2:3]
	v_mul_f64 v[2:3], v[36:37], v[2:3]
	s_waitcnt vmcnt(11)
	v_mul_f64 v[90:91], v[42:43], v[6:7]
	v_mul_f64 v[6:7], v[40:41], v[6:7]
	;; [unrolled: 3-line block ×11, first 2 shown]
	v_fma_f64 v[34:35], v[36:37], v[0:1], v[88:89]
	v_fma_f64 v[36:37], v[38:39], v[0:1], -v[2:3]
	v_fma_f64 v[0:1], v[40:41], v[4:5], v[90:91]
	v_fma_f64 v[2:3], v[42:43], v[4:5], -v[6:7]
	;; [unrolled: 2-line block ×11, first 2 shown]
	ds_write_b128 v237, v[34:37]
	ds_write_b128 v237, v[0:3] offset:960
	ds_write_b128 v237, v[4:7] offset:1920
	;; [unrolled: 1-line block ×10, first 2 shown]
.LBB0_3:
	s_or_b32 exec_lo, exec_lo, s1
	s_load_dwordx2 s[0:1], s[4:5], 0x20
	s_waitcnt lgkmcnt(0)
	s_barrier
	buffer_gl0_inv
                                        ; implicit-def: $vgpr4_vgpr5
                                        ; implicit-def: $vgpr40_vgpr41
                                        ; implicit-def: $vgpr44_vgpr45
                                        ; implicit-def: $vgpr36_vgpr37
                                        ; implicit-def: $vgpr32_vgpr33
                                        ; implicit-def: $vgpr28_vgpr29
                                        ; implicit-def: $vgpr24_vgpr25
                                        ; implicit-def: $vgpr20_vgpr21
                                        ; implicit-def: $vgpr16_vgpr17
                                        ; implicit-def: $vgpr8_vgpr9
                                        ; implicit-def: $vgpr12_vgpr13
	s_and_saveexec_b32 s2, vcc_lo
	s_cbranch_execz .LBB0_5
; %bb.4:
	ds_read_b128 v[4:7], v237
	ds_read_b128 v[40:43], v237 offset:960
	ds_read_b128 v[44:47], v237 offset:1920
	ds_read_b128 v[36:39], v237 offset:2880
	ds_read_b128 v[32:35], v237 offset:3840
	ds_read_b128 v[28:31], v237 offset:4800
	ds_read_b128 v[24:27], v237 offset:5760
	ds_read_b128 v[20:23], v237 offset:6720
	ds_read_b128 v[16:19], v237 offset:7680
	ds_read_b128 v[8:11], v237 offset:8640
	ds_read_b128 v[12:15], v237 offset:9600
.LBB0_5:
	s_or_b32 exec_lo, exec_lo, s2
	s_waitcnt lgkmcnt(0)
	v_add_f64 v[0:1], v[42:43], -v[14:15]
	v_add_f64 v[2:3], v[40:41], -v[12:13]
	s_mov_b32 s20, 0xf8bb580b
	s_mov_b32 s21, 0xbfe14ced
	v_add_f64 v[56:57], v[40:41], v[12:13]
	v_add_f64 v[60:61], v[46:47], -v[10:11]
	v_add_f64 v[58:59], v[42:43], v[14:15]
	v_add_f64 v[62:63], v[44:45], -v[8:9]
	s_mov_b32 s8, 0x8764f0ba
	s_mov_b32 s22, 0x43842ef
	;; [unrolled: 1-line block ×10, first 2 shown]
	v_add_f64 v[48:49], v[44:45], v[8:9]
	v_add_f64 v[54:55], v[46:47], v[10:11]
	v_add_f64 v[64:65], v[38:39], -v[18:19]
	v_add_f64 v[66:67], v[36:37], -v[16:17]
	v_mul_f64 v[50:51], v[0:1], s[20:21]
	v_mul_f64 v[52:53], v[2:3], s[20:21]
	;; [unrolled: 1-line block ×12, first 2 shown]
	s_mov_b32 s6, 0xd9c712b6
	s_mov_b32 s10, 0x640f44db
	;; [unrolled: 1-line block ×10, first 2 shown]
	v_fma_f64 v[102:103], v[56:57], s[8:9], v[50:51]
	v_fma_f64 v[114:115], v[58:59], s[8:9], -v[52:53]
	s_mov_b32 s29, 0x3fe14ced
	s_mov_b32 s34, s26
	;; [unrolled: 1-line block ×4, first 2 shown]
	v_add_f64 v[76:77], v[36:37], v[16:17]
	v_add_f64 v[78:79], v[38:39], v[18:19]
	v_mul_f64 v[96:97], v[64:65], s[22:23]
	v_mul_f64 v[98:99], v[66:67], s[22:23]
	v_fma_f64 v[125:126], v[48:49], s[6:7], v[88:89]
	v_fma_f64 v[127:128], v[54:55], s[6:7], -v[92:93]
	v_mul_f64 v[123:124], v[62:63], s[24:25]
	v_mul_f64 v[129:130], v[60:61], s[34:35]
	v_fma_f64 v[0:1], v[56:57], s[6:7], v[104:105]
	v_fma_f64 v[2:3], v[58:59], s[6:7], -v[106:107]
	v_mul_f64 v[133:134], v[62:63], s[34:35]
	v_mul_f64 v[131:132], v[60:61], s[30:31]
	;; [unrolled: 1-line block ×3, first 2 shown]
	v_fma_f64 v[143:144], v[56:57], s[10:11], v[108:109]
	v_fma_f64 v[145:146], v[58:59], s[10:11], -v[110:111]
	v_fma_f64 v[151:152], v[56:57], s[16:17], v[112:113]
	v_add_f64 v[137:138], v[4:5], v[102:103]
	v_add_f64 v[139:140], v[6:7], v[114:115]
	v_mul_f64 v[114:115], v[60:61], s[24:25]
	v_fma_f64 v[157:158], v[58:59], s[16:17], -v[117:118]
	v_mul_f64 v[155:156], v[60:61], s[28:29]
	v_mul_f64 v[161:162], v[62:63], s[28:29]
	v_fma_f64 v[60:61], v[56:57], s[18:19], v[135:136]
	v_fma_f64 v[62:63], v[58:59], s[18:19], -v[153:154]
	s_mov_b32 s3, 0x3fed1bb4
	v_add_f64 v[68:69], v[34:35], -v[22:23]
	v_add_f64 v[70:71], v[32:33], -v[20:21]
	v_mul_f64 v[119:120], v[64:65], s[34:35]
	v_mul_f64 v[121:122], v[66:67], s[34:35]
	v_fma_f64 v[147:148], v[76:77], s[10:11], v[96:97]
	v_fma_f64 v[149:150], v[78:79], s[10:11], -v[98:99]
	v_fma_f64 v[163:164], v[54:55], s[16:17], -v[123:124]
	v_add_f64 v[0:1], v[4:5], v[0:1]
	v_add_f64 v[2:3], v[6:7], v[2:3]
	v_fma_f64 v[165:166], v[48:49], s[18:19], v[129:130]
	v_fma_f64 v[167:168], v[54:55], s[18:19], -v[133:134]
	v_add_f64 v[143:144], v[4:5], v[143:144]
	v_add_f64 v[145:146], v[6:7], v[145:146]
	;; [unrolled: 1-line block ×4, first 2 shown]
	v_mul_f64 v[125:126], v[64:65], s[2:3]
	v_mul_f64 v[127:128], v[66:67], s[2:3]
	v_fma_f64 v[159:160], v[48:49], s[16:17], v[114:115]
	v_fma_f64 v[171:172], v[48:49], s[10:11], v[131:132]
	v_fma_f64 v[173:174], v[54:55], s[10:11], -v[141:142]
	v_add_f64 v[177:178], v[4:5], v[151:152]
	v_add_f64 v[179:180], v[6:7], v[157:158]
	v_mul_f64 v[151:152], v[64:65], s[20:21]
	v_mul_f64 v[157:158], v[66:67], s[20:21]
	v_add_f64 v[60:61], v[4:5], v[60:61]
	v_fma_f64 v[181:182], v[48:49], s[8:9], v[155:156]
	v_add_f64 v[62:63], v[6:7], v[62:63]
	v_fma_f64 v[183:184], v[54:55], s[8:9], -v[161:162]
	v_mul_f64 v[169:170], v[64:65], s[24:25]
	v_mul_f64 v[175:176], v[66:67], s[24:25]
	v_add_f64 v[82:83], v[32:33], v[20:21]
	v_add_f64 v[86:87], v[34:35], v[22:23]
	v_add_f64 v[72:73], v[30:31], -v[26:27]
	v_add_f64 v[74:75], v[28:29], -v[24:25]
	v_mul_f64 v[84:85], v[68:69], s[24:25]
	v_mul_f64 v[90:91], v[70:71], s[24:25]
	v_add_f64 v[189:190], v[147:148], v[137:138]
	v_add_f64 v[191:192], v[149:150], v[139:140]
	;; [unrolled: 1-line block ×4, first 2 shown]
	v_fma_f64 v[64:65], v[76:77], s[18:19], v[119:120]
	v_fma_f64 v[66:67], v[78:79], s[18:19], -v[121:122]
	v_mul_f64 v[137:138], v[68:69], s[30:31]
	v_mul_f64 v[139:140], v[70:71], s[30:31]
	v_add_f64 v[159:160], v[165:166], v[143:144]
	v_add_f64 v[163:164], v[167:168], v[145:146]
	v_fma_f64 v[193:194], v[76:77], s[6:7], v[125:126]
	v_fma_f64 v[195:196], v[78:79], s[6:7], -v[127:128]
	v_mul_f64 v[147:148], v[68:69], s[20:21]
	v_mul_f64 v[149:150], v[70:71], s[20:21]
	v_add_f64 v[171:172], v[171:172], v[177:178]
	v_add_f64 v[173:174], v[173:174], v[179:180]
	;; [unrolled: 6-line block ×4, first 2 shown]
	v_mul_f64 v[80:81], v[72:73], s[26:27]
	v_mul_f64 v[102:103], v[74:75], s[26:27]
	v_fma_f64 v[185:186], v[82:83], s[16:17], v[84:85]
	v_fma_f64 v[187:188], v[86:87], s[16:17], -v[90:91]
	v_add_f64 v[0:1], v[64:65], v[0:1]
	v_add_f64 v[2:3], v[66:67], v[2:3]
	v_fma_f64 v[64:65], v[82:83], s[10:11], v[137:138]
	v_fma_f64 v[66:67], v[86:87], s[10:11], -v[139:140]
	v_mul_f64 v[143:144], v[72:73], s[28:29]
	v_mul_f64 v[145:146], v[74:75], s[28:29]
	v_add_f64 v[68:69], v[193:194], v[159:160]
	v_add_f64 v[70:71], v[195:196], v[163:164]
	v_fma_f64 v[193:194], v[82:83], s[8:9], v[147:148]
	v_fma_f64 v[195:196], v[86:87], s[8:9], -v[149:150]
	v_mul_f64 v[159:160], v[72:73], s[24:25]
	v_mul_f64 v[163:164], v[74:75], s[24:25]
	;; [unrolled: 6-line block ×4, first 2 shown]
	v_add_f64 v[72:73], v[185:186], v[189:190]
	v_add_f64 v[74:75], v[187:188], v[191:192]
	v_fma_f64 v[185:186], v[94:95], s[18:19], v[80:81]
	v_fma_f64 v[187:188], v[100:101], s[18:19], -v[102:103]
	v_add_f64 v[64:65], v[64:65], v[0:1]
	v_add_f64 v[66:67], v[66:67], v[2:3]
	v_fma_f64 v[189:190], v[94:95], s[8:9], v[143:144]
	v_fma_f64 v[191:192], v[100:101], s[8:9], -v[145:146]
	;; [unrolled: 4-line block ×4, first 2 shown]
	s_load_dwordx2 s[2:3], s[4:5], 0x8
	v_mul_lo_u16 v239, v238, 11
	v_add_f64 v[205:206], v[205:206], v[60:61]
	v_add_f64 v[207:208], v[207:208], v[62:63]
	v_fma_f64 v[209:210], v[94:95], s[10:11], v[181:182]
	v_fma_f64 v[211:212], v[100:101], s[10:11], -v[183:184]
	s_waitcnt lgkmcnt(0)
	s_barrier
	v_add_f64 v[0:1], v[185:186], v[72:73]
	v_add_f64 v[2:3], v[187:188], v[74:75]
	buffer_gl0_inv
	v_add_f64 v[72:73], v[189:190], v[64:65]
	v_add_f64 v[74:75], v[191:192], v[66:67]
	;; [unrolled: 1-line block ×8, first 2 shown]
	s_and_saveexec_b32 s4, vcc_lo
	s_cbranch_execz .LBB0_7
; %bb.6:
	v_add_f64 v[42:43], v[6:7], v[42:43]
	v_add_f64 v[40:41], v[4:5], v[40:41]
	v_mul_f64 v[185:186], v[56:57], s[16:17]
	v_mul_f64 v[187:188], v[56:57], s[18:19]
	;; [unrolled: 1-line block ×20, first 2 shown]
	v_add_f64 v[42:43], v[42:43], v[46:47]
	v_add_f64 v[40:41], v[40:41], v[44:45]
	v_mul_f64 v[44:45], v[58:59], s[18:19]
	v_mul_f64 v[46:47], v[58:59], s[6:7]
	;; [unrolled: 1-line block ×3, first 2 shown]
	v_add_f64 v[135:136], v[187:188], -v[135:136]
	v_add_f64 v[117:118], v[117:118], v[189:190]
	v_add_f64 v[110:111], v[110:111], v[191:192]
	v_add_f64 v[50:51], v[56:57], -v[50:51]
	v_add_f64 v[56:57], v[195:196], -v[104:105]
	;; [unrolled: 1-line block ×3, first 2 shown]
	v_mul_f64 v[219:220], v[78:79], s[10:11]
	v_mul_f64 v[223:224], v[78:79], s[18:19]
	;; [unrolled: 1-line block ×3, first 2 shown]
	v_add_f64 v[112:113], v[123:124], v[203:204]
	v_add_f64 v[54:55], v[133:134], v[54:55]
	;; [unrolled: 1-line block ×3, first 2 shown]
	v_add_f64 v[88:89], v[197:198], -v[88:89]
	v_mul_f64 v[221:222], v[76:77], s[18:19]
	v_add_f64 v[114:115], v[201:202], -v[114:115]
	v_add_f64 v[48:49], v[48:49], -v[131:132]
	v_mul_f64 v[225:226], v[82:83], s[16:17]
	v_add_f64 v[38:39], v[42:43], v[38:39]
	v_add_f64 v[36:37], v[40:41], v[36:37]
	;; [unrolled: 1-line block ×5, first 2 shown]
	v_add_f64 v[58:59], v[193:194], -v[108:109]
	v_mul_f64 v[40:41], v[76:77], s[16:17]
	v_add_f64 v[106:107], v[141:142], v[207:208]
	v_add_f64 v[123:124], v[4:5], v[135:136]
	;; [unrolled: 1-line block ×5, first 2 shown]
	v_mul_f64 v[42:43], v[76:77], s[8:9]
	v_mul_f64 v[76:77], v[76:77], s[6:7]
	v_add_f64 v[108:109], v[205:206], -v[129:130]
	v_mul_f64 v[227:228], v[86:87], s[16:17]
	v_mul_f64 v[229:230], v[82:83], s[10:11]
	;; [unrolled: 1-line block ×7, first 2 shown]
	v_add_f64 v[34:35], v[38:39], v[34:35]
	v_add_f64 v[32:33], v[36:37], v[32:33]
	;; [unrolled: 1-line block ×8, first 2 shown]
	v_mul_f64 v[82:83], v[82:83], s[6:7]
	v_mul_f64 v[86:87], v[86:87], s[6:7]
	v_add_f64 v[58:59], v[127:128], v[78:79]
	v_add_f64 v[78:79], v[121:122], v[223:224]
	v_add_f64 v[98:99], v[98:99], v[219:220]
	v_add_f64 v[96:97], v[217:218], -v[96:97]
	v_add_f64 v[54:55], v[54:55], v[110:111]
	v_add_f64 v[50:51], v[88:89], v[50:51]
	v_add_f64 v[104:105], v[221:222], -v[119:120]
	v_add_f64 v[76:77], v[76:77], -v[125:126]
	;; [unrolled: 1-line block ×3, first 2 shown]
	v_mul_f64 v[36:37], v[94:95], s[18:19]
	v_mul_f64 v[38:39], v[100:101], s[18:19]
	;; [unrolled: 1-line block ×3, first 2 shown]
	v_add_f64 v[30:31], v[34:35], v[30:31]
	v_add_f64 v[28:29], v[32:33], v[28:29]
	;; [unrolled: 1-line block ×3, first 2 shown]
	v_add_f64 v[34:35], v[209:210], -v[155:156]
	v_add_f64 v[46:47], v[112:113], v[46:47]
	v_add_f64 v[6:7], v[92:93], v[6:7]
	;; [unrolled: 1-line block ×5, first 2 shown]
	v_mul_f64 v[246:247], v[100:101], s[8:9]
	v_mul_f64 v[248:249], v[94:95], s[16:17]
	v_mul_f64 v[250:251], v[100:101], s[16:17]
	v_mul_f64 v[252:253], v[94:95], s[6:7]
	v_mul_f64 v[153:154], v[100:101], s[6:7]
	v_mul_f64 v[94:95], v[94:95], s[10:11]
	v_mul_f64 v[100:101], v[100:101], s[10:11]
	v_add_f64 v[48:49], v[167:168], v[242:243]
	v_add_f64 v[92:93], v[139:140], v[231:232]
	;; [unrolled: 1-line block ×3, first 2 shown]
	v_add_f64 v[84:85], v[225:226], -v[84:85]
	v_add_f64 v[88:89], v[233:234], -v[147:148]
	v_add_f64 v[38:39], v[102:103], v[38:39]
	v_add_f64 v[26:27], v[30:31], v[26:27]
	;; [unrolled: 1-line block ×4, first 2 shown]
	v_add_f64 v[30:31], v[40:41], -v[169:170]
	v_add_f64 v[40:41], v[157:158], v[215:216]
	v_add_f64 v[32:33], v[32:33], v[44:45]
	;; [unrolled: 1-line block ×5, first 2 shown]
	v_add_f64 v[106:107], v[229:230], -v[137:138]
	v_add_f64 v[4:5], v[42:43], v[4:5]
	v_add_f64 v[36:37], v[36:37], -v[80:81]
	v_add_f64 v[42:43], v[173:174], v[153:154]
	v_add_f64 v[22:23], v[26:27], v[22:23]
	;; [unrolled: 1-line block ×4, first 2 shown]
	v_add_f64 v[26:27], v[82:83], -v[177:178]
	v_add_f64 v[86:87], v[149:150], v[235:236]
	v_add_f64 v[28:29], v[28:29], v[32:33]
	;; [unrolled: 1-line block ×9, first 2 shown]
	v_add_f64 v[82:83], v[240:241], -v[165:166]
	v_add_f64 v[58:59], v[145:146], v[246:247]
	v_add_f64 v[76:77], v[244:245], -v[143:144]
	v_add_f64 v[54:55], v[163:164], v[250:251]
	v_add_f64 v[56:57], v[248:249], -v[159:160]
	v_add_f64 v[52:53], v[252:253], -v[171:172]
	v_add_f64 v[18:19], v[22:23], v[18:19]
	v_add_f64 v[16:17], v[20:21], v[16:17]
	;; [unrolled: 1-line block ×3, first 2 shown]
	v_add_f64 v[22:23], v[94:95], -v[181:182]
	v_add_f64 v[24:25], v[24:25], v[28:29]
	v_add_f64 v[26:27], v[26:27], v[30:31]
	;; [unrolled: 1-line block ×22, first 2 shown]
	v_mov_b32_e32 v28, 4
	v_lshlrev_b32_sdwa v28, v28, v239 dst_sel:DWORD dst_unused:UNUSED_PAD src0_sel:DWORD src1_sel:WORD_0
	v_add_f64 v[14:15], v[50:51], v[14:15]
	v_add_f64 v[12:13], v[78:79], v[12:13]
	ds_write_b128 v28, v[64:67] offset:96
	ds_write_b128 v28, v[68:71] offset:112
	;; [unrolled: 1-line block ×9, first 2 shown]
	ds_write_b128 v28, v[12:15]
	ds_write_b128 v28, v[0:3] offset:160
.LBB0_7:
	s_or_b32 exec_lo, exec_lo, s4
	v_and_b32_e32 v4, 0xff, v238
	s_load_dwordx4 s[4:7], s[0:1], 0x0
	s_waitcnt lgkmcnt(0)
	s_barrier
	buffer_gl0_inv
	v_mul_lo_u16 v4, 0x75, v4
	s_mov_b32 s0, 0xe8584caa
	s_mov_b32 s1, 0x3febb67a
	;; [unrolled: 1-line block ×4, first 2 shown]
	v_lshrrev_b16 v4, 8, v4
	v_sub_nc_u16 v5, v238, v4
	v_lshrrev_b16 v5, 1, v5
	v_and_b32_e32 v5, 0x7f, v5
	v_add_nc_u16 v4, v5, v4
	v_lshrrev_b16 v100, 3, v4
	v_mul_lo_u16 v4, v100, 11
	v_sub_nc_u16 v4, v238, v4
	v_and_b32_e32 v101, 0xff, v4
	v_mad_u64_u32 v[4:5], null, 0x50, v101, s[2:3]
	s_clause 0x4
	global_load_dwordx4 v[8:11], v[4:5], off offset:32
	global_load_dwordx4 v[28:31], v[4:5], off offset:64
	global_load_dwordx4 v[16:19], v[4:5], off
	global_load_dwordx4 v[24:27], v[4:5], off offset:16
	global_load_dwordx4 v[20:23], v[4:5], off offset:48
	ds_read_b128 v[4:7], v237 offset:5280
	ds_read_b128 v[12:15], v237 offset:8800
	;; [unrolled: 1-line block ×5, first 2 shown]
	s_waitcnt vmcnt(4) lgkmcnt(4)
	v_mul_f64 v[44:45], v[6:7], v[10:11]
	v_mul_f64 v[46:47], v[4:5], v[10:11]
	s_waitcnt vmcnt(3) lgkmcnt(3)
	v_mul_f64 v[48:49], v[12:13], v[30:31]
	v_mul_f64 v[50:51], v[14:15], v[30:31]
	;; [unrolled: 3-line block ×3, first 2 shown]
	v_fma_f64 v[44:45], v[4:5], v[8:9], -v[44:45]
	v_fma_f64 v[46:47], v[6:7], v[8:9], v[46:47]
	v_fma_f64 v[14:15], v[14:15], v[28:29], v[48:49]
	v_fma_f64 v[12:13], v[12:13], v[28:29], -v[50:51]
	s_waitcnt vmcnt(1) lgkmcnt(1)
	v_mul_f64 v[4:5], v[38:39], v[26:27]
	v_mul_f64 v[6:7], v[36:37], v[26:27]
	s_waitcnt vmcnt(0) lgkmcnt(0)
	v_mul_f64 v[48:49], v[42:43], v[22:23]
	v_mul_f64 v[50:51], v[40:41], v[22:23]
	v_fma_f64 v[32:33], v[32:33], v[16:17], -v[52:53]
	v_fma_f64 v[34:35], v[34:35], v[16:17], v[54:55]
	v_add_f64 v[52:53], v[46:47], v[14:15]
	v_add_f64 v[54:55], v[44:45], v[12:13]
	v_fma_f64 v[36:37], v[36:37], v[24:25], -v[4:5]
	v_fma_f64 v[38:39], v[38:39], v[24:25], v[6:7]
	v_fma_f64 v[40:41], v[40:41], v[20:21], -v[48:49]
	v_fma_f64 v[42:43], v[42:43], v[20:21], v[50:51]
	v_add_f64 v[48:49], v[46:47], -v[14:15]
	v_add_f64 v[50:51], v[44:45], -v[12:13]
	ds_read_b128 v[4:7], v237
	s_waitcnt lgkmcnt(0)
	s_barrier
	buffer_gl0_inv
	v_fma_f64 v[52:53], v[52:53], -0.5, v[34:35]
	v_fma_f64 v[54:55], v[54:55], -0.5, v[32:33]
	v_add_f64 v[32:33], v[32:33], v[44:45]
	v_add_f64 v[34:35], v[34:35], v[46:47]
	;; [unrolled: 1-line block ×4, first 2 shown]
	v_fma_f64 v[76:77], v[50:51], s[8:9], v[52:53]
	v_fma_f64 v[78:79], v[48:49], s[8:9], v[54:55]
	;; [unrolled: 1-line block ×4, first 2 shown]
	v_add_f64 v[52:53], v[4:5], v[36:37]
	v_add_f64 v[54:55], v[38:39], -v[42:43]
	v_add_f64 v[38:39], v[6:7], v[38:39]
	v_fma_f64 v[4:5], v[56:57], -0.5, v[4:5]
	v_add_f64 v[36:37], v[36:37], -v[40:41]
	v_fma_f64 v[6:7], v[58:59], -0.5, v[6:7]
	v_add_f64 v[12:13], v[32:33], v[12:13]
	v_add_f64 v[14:15], v[34:35], v[14:15]
	v_mul_f64 v[44:45], v[76:77], s[0:1]
	v_mul_f64 v[46:47], v[78:79], -0.5
	v_mul_f64 v[56:57], v[48:49], s[8:9]
	v_mul_f64 v[58:59], v[50:51], -0.5
	v_add_f64 v[40:41], v[52:53], v[40:41]
	v_add_f64 v[38:39], v[38:39], v[42:43]
	v_fma_f64 v[32:33], v[54:55], s[0:1], v[4:5]
	v_fma_f64 v[4:5], v[54:55], s[8:9], v[4:5]
	;; [unrolled: 1-line block ×4, first 2 shown]
	v_fma_f64 v[36:37], v[48:49], 0.5, v[44:45]
	v_fma_f64 v[42:43], v[50:51], s[0:1], v[46:47]
	v_fma_f64 v[44:45], v[76:77], 0.5, v[56:57]
	v_fma_f64 v[46:47], v[78:79], s[8:9], v[58:59]
	v_add_f64 v[76:77], v[40:41], v[12:13]
	v_add_f64 v[88:89], v[40:41], -v[12:13]
	v_add_f64 v[78:79], v[38:39], v[14:15]
	v_add_f64 v[90:91], v[38:39], -v[14:15]
	v_cmp_gt_u16_e64 s0, 0x42, v238
	v_add_f64 v[80:81], v[32:33], v[36:37]
	v_add_f64 v[84:85], v[4:5], v[42:43]
	;; [unrolled: 1-line block ×4, first 2 shown]
	v_add_f64 v[92:93], v[32:33], -v[36:37]
	v_add_f64 v[96:97], v[4:5], -v[42:43]
	;; [unrolled: 1-line block ×4, first 2 shown]
	v_mov_b32_e32 v4, 0x42
	v_mul_u32_u24_sdwa v4, v100, v4 dst_sel:DWORD dst_unused:UNUSED_PAD src0_sel:WORD_0 src1_sel:DWORD
	v_add_lshl_u32 v240, v4, v101, 4
	ds_write_b128 v240, v[76:79]
	ds_write_b128 v240, v[88:91] offset:528
	ds_write_b128 v240, v[80:83] offset:176
	;; [unrolled: 1-line block ×5, first 2 shown]
	s_waitcnt lgkmcnt(0)
	s_barrier
	buffer_gl0_inv
	s_and_saveexec_b32 s1, s0
	s_cbranch_execz .LBB0_9
; %bb.8:
	ds_read_b128 v[76:79], v237
	ds_read_b128 v[80:83], v237 offset:1056
	ds_read_b128 v[84:87], v237 offset:2112
	;; [unrolled: 1-line block ×9, first 2 shown]
.LBB0_9:
	s_or_b32 exec_lo, exec_lo, s1
	v_add_nc_u32_e32 v4, 0xffffffbe, v238
	s_mov_b32 s17, 0xbfee6f0e
	s_mov_b32 s8, 0x4755a5e
	s_mov_b32 s9, 0x3fe2cf23
	s_mov_b32 s19, 0xbfe2cf23
	v_cndmask_b32_e64 v4, v4, v238, s0
	s_mov_b32 s18, s8
	s_mov_b32 s10, 0x372fe950
	;; [unrolled: 1-line block ×4, first 2 shown]
	v_mul_i32_i24_e32 v5, 0x90, v4
	v_mul_hi_i32_i24_e32 v4, 0x90, v4
	s_mov_b32 s21, 0x3fe9e377
	v_add_co_u32 v48, s1, s2, v5
	v_add_co_ci_u32_e64 v49, s1, s3, v4, s1
	s_mov_b32 s2, 0x134454ff
	s_mov_b32 s3, 0x3fee6f0e
	;; [unrolled: 1-line block ×3, first 2 shown]
	s_clause 0x8
	global_load_dwordx4 v[4:7], v[48:49], off offset:912
	global_load_dwordx4 v[44:47], v[48:49], off offset:944
	;; [unrolled: 1-line block ×9, first 2 shown]
	s_waitcnt vmcnt(8) lgkmcnt(6)
	v_mul_f64 v[100:101], v[90:91], v[6:7]
	v_mul_f64 v[102:103], v[88:89], v[6:7]
	s_waitcnt vmcnt(7) lgkmcnt(4)
	v_mul_f64 v[104:105], v[98:99], v[46:47]
	v_mul_f64 v[106:107], v[96:97], v[46:47]
	;; [unrolled: 3-line block ×4, first 2 shown]
	s_waitcnt vmcnt(4)
	v_mul_f64 v[117:118], v[82:83], v[14:15]
	v_mul_f64 v[119:120], v[80:81], v[14:15]
	s_waitcnt vmcnt(3)
	v_mul_f64 v[121:122], v[86:87], v[58:59]
	v_mul_f64 v[123:124], v[84:85], v[58:59]
	;; [unrolled: 3-line block ×4, first 2 shown]
	s_waitcnt vmcnt(0)
	v_mul_f64 v[133:134], v[60:61], v[50:51]
	v_fma_f64 v[88:89], v[88:89], v[4:5], -v[100:101]
	v_fma_f64 v[90:91], v[90:91], v[4:5], v[102:103]
	v_fma_f64 v[96:97], v[96:97], v[44:45], -v[104:105]
	v_fma_f64 v[98:99], v[98:99], v[44:45], v[106:107]
	;; [unrolled: 2-line block ×3, first 2 shown]
	v_fma_f64 v[74:75], v[74:75], v[52:53], v[112:113]
	v_fma_f64 v[72:73], v[72:73], v[52:53], -v[114:115]
	v_mul_f64 v[100:101], v[62:63], v[50:51]
	v_fma_f64 v[80:81], v[80:81], v[12:13], -v[117:118]
	v_fma_f64 v[82:83], v[82:83], v[12:13], v[119:120]
	v_fma_f64 v[84:85], v[84:85], v[56:57], -v[121:122]
	v_fma_f64 v[86:87], v[86:87], v[56:57], v[123:124]
	;; [unrolled: 2-line block ×4, first 2 shown]
	v_fma_f64 v[62:63], v[62:63], v[48:49], v[133:134]
	v_add_f64 v[143:144], v[88:89], -v[96:97]
	v_add_f64 v[147:148], v[96:97], -v[88:89]
	v_add_f64 v[102:103], v[96:97], v[68:69]
	v_add_f64 v[104:105], v[98:99], v[70:71]
	;; [unrolled: 1-line block ×4, first 2 shown]
	v_fma_f64 v[60:61], v[60:61], v[48:49], -v[100:101]
	v_add_f64 v[117:118], v[90:91], -v[74:75]
	v_add_f64 v[119:120], v[98:99], -v[70:71]
	;; [unrolled: 1-line block ×6, first 2 shown]
	v_add_f64 v[110:111], v[92:93], v[64:65]
	v_add_f64 v[137:138], v[94:95], v[66:67]
	;; [unrolled: 1-line block ×3, first 2 shown]
	v_add_f64 v[151:152], v[90:91], -v[98:99]
	v_add_f64 v[153:154], v[74:75], -v[70:71]
	;; [unrolled: 1-line block ×4, first 2 shown]
	v_add_f64 v[100:101], v[76:77], v[84:85]
	v_add_f64 v[112:113], v[86:87], -v[62:63]
	v_add_f64 v[114:115], v[94:95], -v[66:67]
	;; [unrolled: 1-line block ×3, first 2 shown]
	v_fma_f64 v[102:103], v[102:103], -0.5, v[80:81]
	v_fma_f64 v[104:105], v[104:105], -0.5, v[82:83]
	;; [unrolled: 1-line block ×4, first 2 shown]
	v_add_f64 v[129:130], v[84:85], v[60:61]
	v_add_f64 v[127:128], v[60:61], -v[64:65]
	v_add_f64 v[131:132], v[92:93], -v[84:85]
	v_add_f64 v[133:134], v[64:65], -v[60:61]
	v_add_f64 v[135:136], v[78:79], v[86:87]
	v_add_f64 v[84:85], v[84:85], -v[60:61]
	v_add_f64 v[139:140], v[92:93], -v[64:65]
	v_add_f64 v[80:81], v[80:81], v[88:89]
	v_add_f64 v[82:83], v[82:83], v[90:91]
	v_fma_f64 v[88:89], v[110:111], -0.5, v[76:77]
	v_fma_f64 v[90:91], v[137:138], -0.5, v[78:79]
	;; [unrolled: 1-line block ×3, first 2 shown]
	v_add_f64 v[110:111], v[143:144], v[145:146]
	v_add_f64 v[137:138], v[151:152], v[153:154]
	;; [unrolled: 1-line block ×3, first 2 shown]
	v_add_f64 v[167:168], v[86:87], -v[94:95]
	v_add_f64 v[169:170], v[62:63], -v[66:67]
	;; [unrolled: 1-line block ×3, first 2 shown]
	v_fma_f64 v[165:166], v[117:118], s[16:17], v[102:103]
	v_fma_f64 v[159:160], v[121:122], s[16:17], v[104:105]
	;; [unrolled: 1-line block ×8, first 2 shown]
	v_fma_f64 v[76:77], v[129:130], -0.5, v[76:77]
	v_add_f64 v[129:130], v[147:148], v[149:150]
	v_add_f64 v[171:172], v[66:67], -v[62:63]
	v_add_f64 v[92:93], v[100:101], v[92:93]
	v_add_f64 v[100:101], v[125:126], v[127:128]
	;; [unrolled: 1-line block ×5, first 2 shown]
	v_fma_f64 v[96:97], v[112:113], s[2:3], v[88:89]
	v_fma_f64 v[88:89], v[112:113], s[16:17], v[88:89]
	;; [unrolled: 1-line block ×10, first 2 shown]
	v_add_f64 v[117:118], v[131:132], v[133:134]
	v_fma_f64 v[98:99], v[114:115], s[16:17], v[76:77]
	v_fma_f64 v[76:77], v[114:115], s[2:3], v[76:77]
	;; [unrolled: 1-line block ×6, first 2 shown]
	v_add_f64 v[86:87], v[86:87], v[171:172]
	v_add_f64 v[64:65], v[92:93], v[64:65]
	v_add_f64 v[66:67], v[94:95], v[66:67]
	v_add_f64 v[68:69], v[80:81], v[68:69]
	v_add_f64 v[70:71], v[82:83], v[70:71]
	v_fma_f64 v[80:81], v[114:115], s[8:9], v[96:97]
	v_fma_f64 v[82:83], v[114:115], s[18:19], v[88:89]
	;; [unrolled: 1-line block ×10, first 2 shown]
	v_add_f64 v[110:111], v[167:168], v[169:170]
	v_fma_f64 v[88:89], v[112:113], s[8:9], v[98:99]
	v_fma_f64 v[76:77], v[112:113], s[18:19], v[76:77]
	;; [unrolled: 1-line block ×6, first 2 shown]
	v_add_f64 v[64:65], v[64:65], v[60:61]
	v_add_f64 v[66:67], v[66:67], v[62:63]
	;; [unrolled: 1-line block ×4, first 2 shown]
	v_fma_f64 v[72:73], v[100:101], s[10:11], v[80:81]
	v_fma_f64 v[74:75], v[100:101], s[10:11], v[82:83]
	v_mul_f64 v[112:113], v[131:132], s[20:21]
	v_mul_f64 v[84:85], v[123:124], s[8:9]
	;; [unrolled: 1-line block ×8, first 2 shown]
	v_fma_f64 v[82:83], v[117:118], s[10:11], v[88:89]
	v_fma_f64 v[100:101], v[117:118], s[10:11], v[76:77]
	;; [unrolled: 1-line block ×6, first 2 shown]
	v_add_f64 v[60:61], v[64:65], v[68:69]
	v_add_f64 v[62:63], v[66:67], v[70:71]
	v_add_f64 v[76:77], v[64:65], -v[68:69]
	v_add_f64 v[78:79], v[66:67], -v[70:71]
	v_fma_f64 v[104:105], v[104:105], s[8:9], -v[112:113]
	v_fma_f64 v[80:81], v[102:103], s[20:21], v[84:85]
	v_fma_f64 v[102:103], v[108:109], s[10:11], v[96:97]
	v_fma_f64 v[106:107], v[106:107], s[2:3], -v[98:99]
	v_fma_f64 v[108:109], v[123:124], s[20:21], v[114:115]
	v_fma_f64 v[112:113], v[125:126], s[10:11], v[119:120]
	v_fma_f64 v[114:115], v[127:128], s[16:17], -v[121:122]
	v_fma_f64 v[119:120], v[131:132], s[18:19], -v[129:130]
	v_add_f64 v[84:85], v[74:75], v[104:105]
	v_add_f64 v[96:97], v[72:73], v[80:81]
	;; [unrolled: 1-line block ×8, first 2 shown]
	v_add_f64 v[80:81], v[72:73], -v[80:81]
	v_add_f64 v[72:73], v[82:83], -v[102:103]
	v_add_f64 v[68:69], v[100:101], -v[106:107]
	v_add_f64 v[64:65], v[74:75], -v[104:105]
	v_add_f64 v[82:83], v[117:118], -v[108:109]
	v_add_f64 v[74:75], v[133:134], -v[112:113]
	v_add_f64 v[70:71], v[135:136], -v[114:115]
	v_add_f64 v[66:67], v[110:111], -v[119:120]
	s_and_saveexec_b32 s1, s0
	s_cbranch_execz .LBB0_11
; %bb.10:
	ds_write_b128 v237, v[60:63]
	ds_write_b128 v237, v[96:99] offset:1056
	ds_write_b128 v237, v[92:95] offset:2112
	;; [unrolled: 1-line block ×9, first 2 shown]
.LBB0_11:
	s_or_b32 exec_lo, exec_lo, s1
	s_waitcnt lgkmcnt(0)
	s_barrier
	buffer_gl0_inv
	s_and_saveexec_b32 s2, vcc_lo
	s_cbranch_execz .LBB0_13
; %bb.12:
	v_add_co_u32 v129, s1, s14, v237
	v_add_co_ci_u32_e64 v130, null, s15, 0, s1
	v_add_co_u32 v108, s1, 0x2940, v129
	v_add_co_ci_u32_e64 v109, s1, 0, v130, s1
	v_add_co_u32 v100, s1, 0x2800, v129
	v_add_co_ci_u32_e64 v101, s1, 0, v130, s1
	;; [unrolled: 2-line block ×5, first 2 shown]
	v_add_co_u32 v141, s1, 0x4800, v129
	s_clause 0x6
	global_load_dwordx4 v[100:103], v[100:101], off offset:320
	global_load_dwordx4 v[104:107], v[108:109], off offset:960
	;; [unrolled: 1-line block ×7, first 2 shown]
	v_add_co_ci_u32_e64 v142, s1, 0, v130, s1
	s_clause 0x3
	global_load_dwordx4 v[129:132], v[133:134], off offset:896
	global_load_dwordx4 v[133:136], v[133:134], off offset:1856
	;; [unrolled: 1-line block ×4, first 2 shown]
	ds_read_b128 v[145:148], v237
	ds_read_b128 v[149:152], v237 offset:960
	ds_read_b128 v[153:156], v237 offset:1920
	;; [unrolled: 1-line block ×10, first 2 shown]
	s_waitcnt vmcnt(10) lgkmcnt(10)
	v_mul_f64 v[189:190], v[147:148], v[102:103]
	v_mul_f64 v[102:103], v[145:146], v[102:103]
	s_waitcnt vmcnt(9) lgkmcnt(9)
	v_mul_f64 v[191:192], v[151:152], v[106:107]
	v_mul_f64 v[106:107], v[149:150], v[106:107]
	;; [unrolled: 3-line block ×11, first 2 shown]
	v_fma_f64 v[143:144], v[145:146], v[100:101], -v[189:190]
	v_fma_f64 v[145:146], v[147:148], v[100:101], v[102:103]
	v_fma_f64 v[100:101], v[149:150], v[104:105], -v[191:192]
	v_fma_f64 v[102:103], v[151:152], v[104:105], v[106:107]
	;; [unrolled: 2-line block ×11, first 2 shown]
	ds_write_b128 v237, v[143:146]
	ds_write_b128 v237, v[100:103] offset:960
	ds_write_b128 v237, v[104:107] offset:1920
	ds_write_b128 v237, v[108:111] offset:2880
	ds_write_b128 v237, v[112:115] offset:3840
	ds_write_b128 v237, v[117:120] offset:4800
	ds_write_b128 v237, v[121:124] offset:5760
	ds_write_b128 v237, v[125:128] offset:6720
	ds_write_b128 v237, v[129:132] offset:7680
	ds_write_b128 v237, v[133:136] offset:8640
	ds_write_b128 v237, v[137:140] offset:9600
.LBB0_13:
	s_or_b32 exec_lo, exec_lo, s2
	s_waitcnt lgkmcnt(0)
	s_barrier
	buffer_gl0_inv
	s_and_saveexec_b32 s1, vcc_lo
	s_cbranch_execz .LBB0_15
; %bb.14:
	ds_read_b128 v[60:63], v237
	ds_read_b128 v[96:99], v237 offset:960
	ds_read_b128 v[92:95], v237 offset:1920
	;; [unrolled: 1-line block ×10, first 2 shown]
.LBB0_15:
	s_or_b32 exec_lo, exec_lo, s1
	s_waitcnt lgkmcnt(0)
	v_add_f64 v[123:124], v[98:99], -v[2:3]
	s_mov_b32 s2, 0x8eee2c13
	s_mov_b32 s3, 0xbfed1bb4
	v_add_f64 v[125:126], v[96:97], v[0:1]
	v_add_f64 v[131:132], v[94:95], -v[66:67]
	s_mov_b32 s8, 0xd9c712b6
	s_mov_b32 s18, 0xbb3a28a1
	;; [unrolled: 1-line block ×4, first 2 shown]
	v_add_f64 v[117:118], v[92:93], v[64:65]
	v_add_f64 v[139:140], v[98:99], v[2:3]
	s_mov_b32 s10, 0x7f775887
	s_mov_b32 s11, 0xbfe4f49e
	v_add_f64 v[141:142], v[96:97], -v[0:1]
	v_add_f64 v[119:120], v[94:95], v[66:67]
	v_add_f64 v[121:122], v[92:93], -v[64:65]
	v_add_f64 v[151:152], v[90:91], -v[70:71]
	s_mov_b32 s22, 0xfd768dbf
	s_mov_b32 s23, 0xbfd207e7
	;; [unrolled: 1-line block ×4, first 2 shown]
	v_add_f64 v[133:134], v[88:89], v[68:69]
	v_mul_f64 v[135:136], v[123:124], s[2:3]
	v_add_f64 v[137:138], v[90:91], v[70:71]
	s_mov_b32 s16, 0x9bcd5057
	s_mov_b32 s17, 0xbfeeb42a
	v_mul_f64 v[127:128], v[131:132], s[18:19]
	v_add_f64 v[143:144], v[88:89], -v[68:69]
	v_add_f64 v[161:162], v[86:87], -v[74:75]
	s_mov_b32 s26, 0x43842ef
	s_mov_b32 s27, 0xbfefac9e
	;; [unrolled: 1-line block ×3, first 2 shown]
	v_mul_f64 v[145:146], v[139:140], s[8:9]
	s_mov_b32 s28, s26
	v_add_f64 v[147:148], v[84:85], v[72:73]
	v_add_f64 v[155:156], v[86:87], v[74:75]
	v_mul_f64 v[129:130], v[119:120], s[10:11]
	s_mov_b32 s24, 0x640f44db
	v_mul_f64 v[149:150], v[151:152], s[20:21]
	s_mov_b32 s25, 0xbfc2375f
	v_add_f64 v[157:158], v[84:85], -v[72:73]
	v_add_f64 v[175:176], v[78:79], -v[82:83]
	s_mov_b32 s34, 0xf8bb580b
	s_mov_b32 s35, 0x3fe14ced
	v_fma_f64 v[100:101], v[125:126], s[8:9], -v[135:136]
	v_mul_f64 v[153:154], v[137:138], s[16:17]
	v_add_f64 v[159:160], v[76:77], v[80:81]
	v_add_f64 v[165:166], v[78:79], v[82:83]
	v_fma_f64 v[102:103], v[117:118], s[10:11], -v[127:128]
	s_mov_b32 s30, 0x8764f0ba
	v_mul_f64 v[163:164], v[161:162], s[28:29]
	s_mov_b32 s31, 0x3feaeb8c
	v_add_f64 v[169:170], v[76:77], -v[80:81]
	v_mul_f64 v[209:210], v[123:124], s[26:27]
	v_mul_f64 v[173:174], v[131:132], s[20:21]
	;; [unrolled: 1-line block ×5, first 2 shown]
	v_fma_f64 v[104:105], v[121:122], s[18:19], v[129:130]
	s_mov_b32 s37, 0x3fed1bb4
	s_mov_b32 s36, s2
	v_mul_f64 v[185:186], v[137:138], s[8:9]
	v_mul_f64 v[177:178], v[151:152], s[36:37]
	;; [unrolled: 1-line block ×3, first 2 shown]
	s_mov_b32 s39, 0xbfe14ced
	s_mov_b32 s38, s34
	v_add_f64 v[100:101], v[60:61], v[100:101]
	v_mul_f64 v[183:184], v[161:162], s[38:39]
	v_mul_f64 v[189:190], v[155:156], s[30:31]
	v_mul_f64 v[181:182], v[165:166], s[30:31]
	v_mul_f64 v[187:188], v[175:176], s[18:19]
	v_mul_f64 v[191:192], v[165:166], s[10:11]
	v_mul_f64 v[227:228], v[123:124], s[18:19]
	v_mul_f64 v[213:214], v[131:132], s[28:29]
	v_mul_f64 v[231:232], v[139:140], s[10:11]
	v_mul_f64 v[217:218], v[119:120], s[24:25]
	v_mul_f64 v[215:216], v[151:152], s[38:39]
	v_mul_f64 v[223:224], v[137:138], s[30:31]
	v_fma_f64 v[108:109], v[121:122], s[20:21], v[179:180]
	v_mul_f64 v[219:220], v[161:162], s[22:23]
	v_mul_f64 v[225:226], v[155:156], s[16:17]
	;; [unrolled: 1-line block ×9, first 2 shown]
	v_add_f64 v[100:101], v[102:103], v[100:101]
	v_fma_f64 v[102:103], v[141:142], s[2:3], v[145:146]
	v_mul_f64 v[203:204], v[137:138], s[10:11]
	v_mul_f64 v[205:206], v[155:156], s[8:9]
	s_barrier
	buffer_gl0_inv
	v_fma_f64 v[110:111], v[117:118], s[24:25], -v[213:214]
	v_fma_f64 v[112:113], v[121:122], s[28:29], v[217:218]
	v_fma_f64 v[195:196], v[121:122], s[34:35], v[201:202]
	v_add_f64 v[102:103], v[62:63], v[102:103]
	v_add_f64 v[102:103], v[104:105], v[102:103]
	v_fma_f64 v[104:105], v[133:134], s[16:17], -v[149:150]
	v_add_f64 v[100:101], v[104:105], v[100:101]
	v_fma_f64 v[104:105], v[143:144], s[20:21], v[153:154]
	v_add_f64 v[102:103], v[104:105], v[102:103]
	v_fma_f64 v[104:105], v[147:148], s[24:25], -v[163:164]
	v_add_f64 v[100:101], v[104:105], v[100:101]
	v_fma_f64 v[104:105], v[157:158], s[28:29], v[167:168]
	;; [unrolled: 4-line block ×3, first 2 shown]
	v_add_f64 v[106:107], v[100:101], v[102:103]
	v_fma_f64 v[100:101], v[125:126], s[24:25], -v[209:210]
	v_fma_f64 v[102:103], v[117:118], s[16:17], -v[173:174]
	v_add_f64 v[100:101], v[60:61], v[100:101]
	v_add_f64 v[100:101], v[102:103], v[100:101]
	v_fma_f64 v[102:103], v[141:142], s[26:27], v[211:212]
	v_add_f64 v[102:103], v[62:63], v[102:103]
	v_add_f64 v[102:103], v[108:109], v[102:103]
	v_fma_f64 v[108:109], v[133:134], s[8:9], -v[177:178]
	v_add_f64 v[100:101], v[108:109], v[100:101]
	v_fma_f64 v[108:109], v[143:144], s[36:37], v[185:186]
	v_add_f64 v[102:103], v[108:109], v[102:103]
	v_fma_f64 v[108:109], v[147:148], s[30:31], -v[183:184]
	v_add_f64 v[100:101], v[108:109], v[100:101]
	v_fma_f64 v[108:109], v[157:158], s[38:39], v[189:190]
	;; [unrolled: 4-line block ×3, first 2 shown]
	v_add_f64 v[102:103], v[108:109], v[102:103]
	v_fma_f64 v[108:109], v[125:126], s[10:11], -v[227:228]
	v_add_f64 v[108:109], v[60:61], v[108:109]
	v_add_f64 v[108:109], v[110:111], v[108:109]
	v_fma_f64 v[110:111], v[141:142], s[18:19], v[231:232]
	v_add_f64 v[110:111], v[62:63], v[110:111]
	v_add_f64 v[110:111], v[112:113], v[110:111]
	v_fma_f64 v[112:113], v[133:134], s[30:31], -v[215:216]
	v_add_f64 v[108:109], v[112:113], v[108:109]
	v_fma_f64 v[112:113], v[143:144], s[38:39], v[223:224]
	v_add_f64 v[110:111], v[112:113], v[110:111]
	v_fma_f64 v[112:113], v[147:148], s[16:17], -v[219:220]
	v_add_f64 v[108:109], v[112:113], v[108:109]
	v_fma_f64 v[112:113], v[157:158], s[22:23], v[225:226]
	;; [unrolled: 4-line block ×3, first 2 shown]
	v_add_f64 v[114:115], v[108:109], v[110:111]
	v_fma_f64 v[108:109], v[125:126], s[16:17], -v[233:234]
	v_fma_f64 v[110:111], v[117:118], s[30:31], -v[193:194]
	v_add_f64 v[108:109], v[60:61], v[108:109]
	v_add_f64 v[108:109], v[110:111], v[108:109]
	v_fma_f64 v[110:111], v[141:142], s[22:23], v[235:236]
	v_add_f64 v[110:111], v[62:63], v[110:111]
	v_add_f64 v[110:111], v[195:196], v[110:111]
	v_fma_f64 v[195:196], v[133:134], s[10:11], -v[197:198]
	v_add_f64 v[108:109], v[195:196], v[108:109]
	v_fma_f64 v[195:196], v[143:144], s[18:19], v[203:204]
	v_add_f64 v[110:111], v[195:196], v[110:111]
	v_mul_f64 v[195:196], v[161:162], s[36:37]
	v_fma_f64 v[199:200], v[147:148], s[8:9], -v[195:196]
	v_add_f64 v[108:109], v[199:200], v[108:109]
	v_fma_f64 v[199:200], v[157:158], s[36:37], v[205:206]
	v_add_f64 v[110:111], v[199:200], v[110:111]
	v_mul_f64 v[199:200], v[175:176], s[26:27]
	v_fma_f64 v[207:208], v[159:160], s[24:25], -v[199:200]
	v_add_f64 v[108:109], v[207:208], v[108:109]
	v_mul_f64 v[207:208], v[165:166], s[24:25]
	v_fma_f64 v[241:242], v[169:170], s[26:27], v[207:208]
	v_add_f64 v[110:111], v[241:242], v[110:111]
	s_and_saveexec_b32 s1, vcc_lo
	s_cbranch_execz .LBB0_17
; %bb.16:
	v_add_f64 v[98:99], v[62:63], v[98:99]
	v_add_f64 v[96:97], v[60:61], v[96:97]
	v_mul_f64 v[123:124], v[123:124], s[38:39]
	v_add_f64 v[94:95], v[98:99], v[94:95]
	v_add_f64 v[92:93], v[96:97], v[92:93]
	v_mul_f64 v[96:97], v[141:142], s[38:39]
	;; [unrolled: 3-line block ×3, first 2 shown]
	v_mul_f64 v[94:95], v[125:126], s[24:25]
	v_fma_f64 v[98:99], v[139:140], s[30:31], -v[96:97]
	v_fma_f64 v[96:97], v[139:140], s[30:31], v[96:97]
	v_add_f64 v[86:87], v[90:91], v[86:87]
	v_add_f64 v[84:85], v[88:89], v[84:85]
	;; [unrolled: 1-line block ×3, first 2 shown]
	v_fma_f64 v[135:136], v[125:126], s[30:31], v[123:124]
	v_mul_f64 v[88:89], v[141:142], s[26:27]
	v_mul_f64 v[90:91], v[141:142], s[2:3]
	v_fma_f64 v[123:124], v[125:126], s[30:31], -v[123:124]
	v_add_f64 v[94:95], v[94:95], v[209:210]
	v_add_f64 v[98:99], v[62:63], v[98:99]
	;; [unrolled: 1-line block ×5, first 2 shown]
	v_mul_f64 v[84:85], v[141:142], s[18:19]
	v_mul_f64 v[86:87], v[125:126], s[10:11]
	v_add_f64 v[88:89], v[211:212], -v[88:89]
	v_add_f64 v[90:91], v[145:146], -v[90:91]
	v_add_f64 v[92:93], v[60:61], v[92:93]
	v_add_f64 v[94:95], v[60:61], v[94:95]
	;; [unrolled: 1-line block ×3, first 2 shown]
	v_mul_f64 v[145:146], v[175:176], s[22:23]
	v_add_f64 v[78:79], v[78:79], v[82:83]
	v_add_f64 v[76:77], v[76:77], v[80:81]
	v_mul_f64 v[80:81], v[141:142], s[22:23]
	v_mul_f64 v[82:83], v[125:126], s[16:17]
	v_add_f64 v[84:85], v[231:232], -v[84:85]
	v_add_f64 v[86:87], v[86:87], v[227:228]
	v_add_f64 v[125:126], v[60:61], v[135:136]
	;; [unrolled: 1-line block ×4, first 2 shown]
	v_mul_f64 v[141:142], v[161:162], s[18:19]
	v_add_f64 v[135:136], v[78:79], v[74:75]
	v_add_f64 v[139:140], v[76:77], v[72:73]
	v_mul_f64 v[74:75], v[121:122], s[28:29]
	v_mul_f64 v[76:77], v[117:118], s[24:25]
	v_add_f64 v[80:81], v[235:236], -v[80:81]
	v_add_f64 v[84:85], v[62:63], v[84:85]
	v_add_f64 v[86:87], v[60:61], v[86:87]
	v_mul_f64 v[72:73], v[143:144], s[38:39]
	v_mul_f64 v[78:79], v[133:134], s[30:31]
	v_add_f64 v[82:83], v[82:83], v[233:234]
	v_add_f64 v[74:75], v[217:218], -v[74:75]
	v_add_f64 v[76:77], v[76:77], v[213:214]
	v_add_f64 v[80:81], v[62:63], v[80:81]
	v_mul_f64 v[62:63], v[157:158], s[22:23]
	v_add_f64 v[72:73], v[223:224], -v[72:73]
	v_add_f64 v[78:79], v[78:79], v[215:216]
	v_add_f64 v[82:83], v[60:61], v[82:83]
	v_mul_f64 v[60:61], v[169:170], s[36:37]
	v_add_f64 v[74:75], v[74:75], v[84:85]
	v_add_f64 v[76:77], v[76:77], v[86:87]
	v_mul_f64 v[84:85], v[147:148], s[16:17]
	v_add_f64 v[62:63], v[225:226], -v[62:63]
	v_mul_f64 v[86:87], v[131:132], s[2:3]
	v_mul_f64 v[131:132], v[157:158], s[18:19]
	v_add_f64 v[60:61], v[229:230], -v[60:61]
	v_add_f64 v[72:73], v[72:73], v[74:75]
	v_add_f64 v[74:75], v[78:79], v[76:77]
	;; [unrolled: 1-line block ×3, first 2 shown]
	v_mul_f64 v[76:77], v[159:160], s[8:9]
	v_mul_f64 v[78:79], v[117:118], s[10:11]
	v_add_f64 v[62:63], v[62:63], v[72:73]
	v_add_f64 v[72:73], v[84:85], v[74:75]
	;; [unrolled: 1-line block ×3, first 2 shown]
	v_mul_f64 v[84:85], v[121:122], s[2:3]
	v_fma_f64 v[74:75], v[117:118], s[8:9], v[86:87]
	v_add_f64 v[78:79], v[78:79], v[127:128]
	v_mul_f64 v[127:128], v[143:144], s[20:21]
	v_fma_f64 v[86:87], v[117:118], s[8:9], -v[86:87]
	v_add_f64 v[62:63], v[60:61], v[62:63]
	v_add_f64 v[60:61], v[76:77], v[72:73]
	v_fma_f64 v[72:73], v[119:120], s[8:9], -v[84:85]
	v_add_f64 v[74:75], v[74:75], v[125:126]
	v_mul_f64 v[125:126], v[151:152], s[26:27]
	v_mul_f64 v[151:152], v[169:170], s[22:23]
	v_add_f64 v[127:128], v[153:154], -v[127:128]
	v_mul_f64 v[153:154], v[147:148], s[24:25]
	v_add_f64 v[78:79], v[78:79], v[92:93]
	v_mul_f64 v[92:93], v[159:160], s[30:31]
	v_fma_f64 v[84:85], v[119:120], s[8:9], v[84:85]
	v_add_f64 v[86:87], v[86:87], v[123:124]
	v_add_f64 v[72:73], v[72:73], v[98:99]
	v_mul_f64 v[98:99], v[143:144], s[26:27]
	v_fma_f64 v[119:120], v[133:134], s[24:25], -v[125:126]
	v_add_f64 v[153:154], v[153:154], v[163:164]
	v_add_f64 v[92:93], v[92:93], v[171:172]
	;; [unrolled: 1-line block ×3, first 2 shown]
	v_fma_f64 v[96:97], v[155:156], s[10:11], v[131:132]
	v_fma_f64 v[76:77], v[137:138], s[24:25], -v[98:99]
	v_fma_f64 v[98:99], v[137:138], s[24:25], v[98:99]
	v_add_f64 v[86:87], v[119:120], v[86:87]
	v_add_f64 v[72:73], v[76:77], v[72:73]
	v_fma_f64 v[76:77], v[133:134], s[24:25], v[125:126]
	v_add_f64 v[84:85], v[98:99], v[84:85]
	v_fma_f64 v[98:99], v[165:166], s[16:17], v[151:152]
	v_add_f64 v[74:75], v[76:77], v[74:75]
	v_fma_f64 v[76:77], v[155:156], s[10:11], -v[131:132]
	v_add_f64 v[72:73], v[76:77], v[72:73]
	v_fma_f64 v[76:77], v[147:148], s[10:11], v[141:142]
	v_add_f64 v[76:77], v[76:77], v[74:75]
	v_fma_f64 v[74:75], v[165:166], s[16:17], -v[151:152]
	v_add_f64 v[74:75], v[74:75], v[72:73]
	v_fma_f64 v[72:73], v[159:160], s[16:17], v[145:146]
	v_add_f64 v[72:73], v[72:73], v[76:77]
	v_mul_f64 v[76:77], v[121:122], s[18:19]
	v_add_f64 v[76:77], v[129:130], -v[76:77]
	v_mul_f64 v[129:130], v[133:134], s[16:17]
	v_add_f64 v[76:77], v[76:77], v[90:91]
	v_add_f64 v[129:130], v[129:130], v[149:150]
	v_mul_f64 v[149:150], v[157:158], s[28:29]
	v_mul_f64 v[90:91], v[169:170], s[34:35]
	v_add_f64 v[76:77], v[127:128], v[76:77]
	v_add_f64 v[78:79], v[129:130], v[78:79]
	v_add_f64 v[149:150], v[167:168], -v[149:150]
	v_add_f64 v[90:91], v[181:182], -v[90:91]
	v_mul_f64 v[129:130], v[133:134], s[8:9]
	v_add_f64 v[127:128], v[153:154], v[78:79]
	v_add_f64 v[76:77], v[149:150], v[76:77]
	;; [unrolled: 1-line block ×7, first 2 shown]
	v_mul_f64 v[68:69], v[121:122], s[20:21]
	v_mul_f64 v[70:71], v[117:118], s[16:17]
	;; [unrolled: 1-line block ×5, first 2 shown]
	v_add_f64 v[68:69], v[179:180], -v[68:69]
	v_add_f64 v[70:71], v[70:71], v[173:174]
	v_add_f64 v[127:128], v[185:186], -v[127:128]
	v_add_f64 v[135:136], v[189:190], -v[135:136]
	v_add_f64 v[139:140], v[139:140], v[183:184]
	v_add_f64 v[68:69], v[68:69], v[88:89]
	;; [unrolled: 1-line block ×3, first 2 shown]
	v_mul_f64 v[88:89], v[169:170], s[18:19]
	v_mul_f64 v[94:95], v[159:160], s[10:11]
	v_add_f64 v[68:69], v[127:128], v[68:69]
	v_add_f64 v[70:71], v[129:130], v[70:71]
	v_add_f64 v[88:89], v[191:192], -v[88:89]
	v_add_f64 v[94:95], v[94:95], v[187:188]
	v_add_f64 v[68:69], v[135:136], v[68:69]
	;; [unrolled: 1-line block ×5, first 2 shown]
	v_mul_f64 v[94:95], v[121:122], s[34:35]
	v_mul_f64 v[121:122], v[117:118], s[30:31]
	v_add_f64 v[88:89], v[90:91], v[66:67]
	v_add_f64 v[90:91], v[92:93], v[64:65]
	v_mul_f64 v[92:93], v[143:144], s[18:19]
	v_mul_f64 v[117:118], v[133:134], s[10:11]
	;; [unrolled: 1-line block ×4, first 2 shown]
	v_add_f64 v[94:95], v[201:202], -v[94:95]
	v_add_f64 v[121:122], v[121:122], v[193:194]
	v_add_f64 v[2:3], v[88:89], v[2:3]
	;; [unrolled: 1-line block ×3, first 2 shown]
	v_add_f64 v[92:93], v[203:204], -v[92:93]
	v_add_f64 v[117:118], v[117:118], v[197:198]
	v_add_f64 v[66:67], v[205:206], -v[66:67]
	v_add_f64 v[64:65], v[207:208], -v[64:65]
	v_add_f64 v[80:81], v[94:95], v[80:81]
	v_add_f64 v[82:83], v[121:122], v[82:83]
	v_mul_f64 v[94:95], v[147:148], s[8:9]
	v_fma_f64 v[121:122], v[147:148], s[10:11], -v[141:142]
	v_add_f64 v[80:81], v[92:93], v[80:81]
	v_add_f64 v[82:83], v[117:118], v[82:83]
	;; [unrolled: 1-line block ×3, first 2 shown]
	v_mul_f64 v[92:93], v[159:160], s[24:25]
	v_add_f64 v[86:87], v[121:122], v[86:87]
	v_add_f64 v[66:67], v[66:67], v[80:81]
	;; [unrolled: 1-line block ×5, first 2 shown]
	v_fma_f64 v[84:85], v[159:160], s[16:17], -v[145:146]
	v_add_f64 v[66:67], v[64:65], v[66:67]
	v_add_f64 v[64:65], v[92:93], v[80:81]
	;; [unrolled: 1-line block ×4, first 2 shown]
	v_mov_b32_e32 v84, 4
	v_lshlrev_b32_sdwa v84, v84, v239 dst_sel:DWORD dst_unused:UNUSED_PAD src0_sel:DWORD src1_sel:WORD_0
	ds_write_b128 v84, v[108:111] offset:96
	ds_write_b128 v84, v[112:115] offset:112
	;; [unrolled: 1-line block ×9, first 2 shown]
	ds_write_b128 v84, v[0:3]
	ds_write_b128 v84, v[80:83] offset:160
.LBB0_17:
	s_or_b32 exec_lo, exec_lo, s1
	s_waitcnt lgkmcnt(0)
	s_barrier
	buffer_gl0_inv
	ds_read_b128 v[0:3], v237 offset:5280
	ds_read_b128 v[60:63], v237 offset:8800
	;; [unrolled: 1-line block ×5, first 2 shown]
	s_mov_b32 s2, 0xe8584caa
	s_mov_b32 s3, 0xbfebb67a
	;; [unrolled: 1-line block ×4, first 2 shown]
	s_waitcnt lgkmcnt(4)
	v_mul_f64 v[76:77], v[10:11], v[0:1]
	s_waitcnt lgkmcnt(3)
	v_mul_f64 v[78:79], v[30:31], v[60:61]
	;; [unrolled: 2-line block ×3, first 2 shown]
	v_mul_f64 v[10:11], v[10:11], v[2:3]
	v_mul_f64 v[30:31], v[30:31], v[62:63]
	v_fma_f64 v[76:77], v[8:9], v[2:3], -v[76:77]
	v_fma_f64 v[62:63], v[28:29], v[62:63], -v[78:79]
	v_mul_f64 v[2:3], v[18:19], v[66:67]
	s_waitcnt lgkmcnt(1)
	v_mul_f64 v[18:19], v[26:27], v[70:71]
	v_mul_f64 v[26:27], v[26:27], v[68:69]
	s_waitcnt lgkmcnt(0)
	v_mul_f64 v[78:79], v[22:23], v[74:75]
	v_mul_f64 v[22:23], v[22:23], v[72:73]
	v_fma_f64 v[8:9], v[8:9], v[0:1], v[10:11]
	v_fma_f64 v[10:11], v[28:29], v[60:61], v[30:31]
	v_fma_f64 v[28:29], v[16:17], v[66:67], -v[80:81]
	v_add_f64 v[0:1], v[76:77], v[62:63]
	v_fma_f64 v[16:17], v[16:17], v[64:65], v[2:3]
	v_fma_f64 v[18:19], v[24:25], v[68:69], v[18:19]
	v_fma_f64 v[24:25], v[24:25], v[70:71], -v[26:27]
	v_fma_f64 v[26:27], v[20:21], v[72:73], v[78:79]
	v_fma_f64 v[20:21], v[20:21], v[74:75], -v[22:23]
	v_add_f64 v[68:69], v[76:77], -v[62:63]
	v_add_f64 v[22:23], v[8:9], v[10:11]
	v_add_f64 v[30:31], v[8:9], -v[10:11]
	v_fma_f64 v[60:61], v[0:1], -0.5, v[28:29]
	ds_read_b128 v[0:3], v237
	v_add_f64 v[8:9], v[16:17], v[8:9]
	s_waitcnt lgkmcnt(0)
	v_add_f64 v[64:65], v[18:19], v[26:27]
	v_add_f64 v[66:67], v[24:25], v[20:21]
	v_add_f64 v[72:73], v[24:25], -v[20:21]
	v_fma_f64 v[22:23], v[22:23], -0.5, v[16:17]
	v_add_f64 v[16:17], v[28:29], v[76:77]
	s_barrier
	buffer_gl0_inv
	v_add_f64 v[24:25], v[2:3], v[24:25]
	v_fma_f64 v[70:71], v[30:31], s[8:9], v[60:61]
	v_fma_f64 v[30:31], v[30:31], s[2:3], v[60:61]
	v_add_f64 v[60:61], v[0:1], v[18:19]
	v_add_f64 v[18:19], v[18:19], -v[26:27]
	v_fma_f64 v[0:1], v[64:65], -0.5, v[0:1]
	v_fma_f64 v[2:3], v[66:67], -0.5, v[2:3]
	v_add_f64 v[8:9], v[8:9], v[10:11]
	v_fma_f64 v[28:29], v[68:69], s[2:3], v[22:23]
	v_fma_f64 v[22:23], v[68:69], s[8:9], v[22:23]
	v_add_f64 v[10:11], v[16:17], v[62:63]
	v_add_f64 v[20:21], v[24:25], v[20:21]
	v_mul_f64 v[64:65], v[70:71], s[2:3]
	v_mul_f64 v[66:67], v[30:31], s[2:3]
	v_mul_f64 v[68:69], v[70:71], 0.5
	v_mul_f64 v[30:31], v[30:31], -0.5
	v_add_f64 v[26:27], v[60:61], v[26:27]
	v_fma_f64 v[16:17], v[72:73], s[2:3], v[0:1]
	v_fma_f64 v[60:61], v[72:73], s[8:9], v[0:1]
	;; [unrolled: 1-line block ×4, first 2 shown]
	v_add_f64 v[2:3], v[20:21], v[10:11]
	v_fma_f64 v[18:19], v[28:29], 0.5, v[64:65]
	v_fma_f64 v[64:65], v[22:23], -0.5, v[66:67]
	v_fma_f64 v[66:67], v[28:29], s[8:9], v[68:69]
	v_fma_f64 v[30:31], v[22:23], s[8:9], v[30:31]
	v_add_f64 v[0:1], v[26:27], v[8:9]
	v_add_f64 v[24:25], v[26:27], -v[8:9]
	v_add_f64 v[26:27], v[20:21], -v[10:11]
	v_add_f64 v[8:9], v[16:17], v[18:19]
	v_add_f64 v[20:21], v[60:61], v[64:65]
	;; [unrolled: 1-line block ×4, first 2 shown]
	v_add_f64 v[16:17], v[16:17], -v[18:19]
	v_add_f64 v[28:29], v[60:61], -v[64:65]
	;; [unrolled: 1-line block ×4, first 2 shown]
	ds_write_b128 v240, v[0:3]
	ds_write_b128 v240, v[24:27] offset:528
	ds_write_b128 v240, v[8:11] offset:176
	;; [unrolled: 1-line block ×5, first 2 shown]
	s_waitcnt lgkmcnt(0)
	s_barrier
	buffer_gl0_inv
	s_and_saveexec_b32 s1, s0
	s_cbranch_execz .LBB0_19
; %bb.18:
	ds_read_b128 v[0:3], v237
	ds_read_b128 v[8:11], v237 offset:1056
	ds_read_b128 v[20:23], v237 offset:2112
	;; [unrolled: 1-line block ×9, first 2 shown]
.LBB0_19:
	s_or_b32 exec_lo, exec_lo, s1
	s_and_saveexec_b32 s24, s0
	s_cbranch_execz .LBB0_21
; %bb.20:
	s_waitcnt lgkmcnt(6)
	v_mul_f64 v[60:61], v[6:7], v[24:25]
	s_waitcnt lgkmcnt(4)
	v_mul_f64 v[62:63], v[46:47], v[28:29]
	;; [unrolled: 2-line block ×4, first 2 shown]
	v_mul_f64 v[6:7], v[6:7], v[26:27]
	v_mul_f64 v[46:47], v[46:47], v[30:31]
	;; [unrolled: 1-line block ×14, first 2 shown]
	s_mov_b32 s2, 0x134454ff
	s_mov_b32 s3, 0xbfee6f0e
	;; [unrolled: 1-line block ×4, first 2 shown]
	v_fma_f64 v[26:27], v[4:5], v[26:27], -v[60:61]
	v_fma_f64 v[30:31], v[44:45], v[30:31], -v[62:63]
	v_fma_f64 v[60:61], v[40:41], v[114:115], -v[64:65]
	v_fma_f64 v[62:63], v[52:53], v[106:107], -v[66:67]
	v_fma_f64 v[4:5], v[4:5], v[24:25], v[6:7]
	v_fma_f64 v[6:7], v[44:45], v[28:29], v[46:47]
	v_fma_f64 v[28:29], v[52:53], v[104:105], v[54:55]
	v_fma_f64 v[24:25], v[40:41], v[112:113], v[42:43]
	v_fma_f64 v[10:11], v[12:13], v[10:11], -v[76:77]
	v_fma_f64 v[22:23], v[56:57], v[22:23], -v[68:69]
	;; [unrolled: 1-line block ×5, first 2 shown]
	v_fma_f64 v[20:21], v[56:57], v[20:21], v[58:59]
	v_fma_f64 v[44:45], v[48:49], v[100:101], v[50:51]
	;; [unrolled: 1-line block ×5, first 2 shown]
	s_mov_b32 s8, 0x4755a5e
	s_mov_b32 s9, 0xbfe2cf23
	s_mov_b32 s21, 0x3fe2cf23
	s_mov_b32 s20, s8
	s_mov_b32 s0, 0x372fe950
	v_add_f64 v[70:71], v[26:27], -v[30:31]
	v_add_f64 v[40:41], v[30:31], v[60:61]
	v_add_f64 v[42:43], v[26:27], v[62:63]
	v_add_f64 v[58:59], v[26:27], -v[62:63]
	v_add_f64 v[68:69], v[30:31], -v[60:61]
	v_add_f64 v[36:37], v[4:5], v[28:29]
	v_add_f64 v[34:35], v[6:7], v[24:25]
	v_add_f64 v[38:39], v[4:5], -v[28:29]
	v_add_f64 v[46:47], v[6:7], -v[24:25]
	;; [unrolled: 1-line block ×3, first 2 shown]
	v_add_f64 v[78:79], v[22:23], v[64:65]
	v_add_f64 v[48:49], v[18:19], v[66:67]
	v_add_f64 v[84:85], v[30:31], -v[26:27]
	v_add_f64 v[86:87], v[60:61], -v[62:63]
	v_add_f64 v[94:95], v[20:21], v[44:45]
	v_add_f64 v[92:93], v[16:17], v[32:33]
	v_add_f64 v[50:51], v[20:21], -v[44:45]
	v_add_f64 v[54:55], v[4:5], -v[6:7]
	;; [unrolled: 1-line block ×3, first 2 shown]
	v_add_f64 v[88:89], v[2:3], v[22:23]
	v_add_f64 v[96:97], v[20:21], -v[16:17]
	v_add_f64 v[102:103], v[16:17], -v[20:21]
	v_add_f64 v[20:21], v[0:1], v[20:21]
	v_fma_f64 v[40:41], v[40:41], -0.5, v[10:11]
	v_fma_f64 v[42:43], v[42:43], -0.5, v[10:11]
	v_add_f64 v[10:11], v[10:11], v[26:27]
	v_add_f64 v[4:5], v[8:9], v[4:5]
	v_fma_f64 v[36:37], v[36:37], -0.5, v[8:9]
	v_fma_f64 v[34:35], v[34:35], -0.5, v[8:9]
	v_add_f64 v[12:13], v[22:23], -v[18:19]
	v_add_f64 v[14:15], v[64:65], -v[66:67]
	;; [unrolled: 1-line block ×8, first 2 shown]
	v_fma_f64 v[8:9], v[48:49], -0.5, v[2:3]
	v_fma_f64 v[2:3], v[78:79], -0.5, v[2:3]
	v_add_f64 v[48:49], v[70:71], v[72:73]
	v_add_f64 v[70:71], v[84:85], v[86:87]
	s_mov_b32 s1, 0x3fd3c6ef
	v_add_f64 v[18:19], v[88:89], v[18:19]
	v_add_f64 v[76:77], v[66:67], -v[64:65]
	v_add_f64 v[16:17], v[20:21], v[16:17]
	v_fma_f64 v[26:27], v[38:39], s[2:3], v[40:41]
	v_fma_f64 v[90:91], v[46:47], s[18:19], v[42:43]
	v_fma_f64 v[42:43], v[46:47], s[2:3], v[42:43]
	v_fma_f64 v[40:41], v[38:39], s[18:19], v[40:41]
	v_fma_f64 v[78:79], v[68:69], s[2:3], v[36:37]
	v_fma_f64 v[72:73], v[58:59], s[18:19], v[34:35]
	v_fma_f64 v[36:37], v[68:69], s[18:19], v[36:37]
	v_fma_f64 v[34:35], v[58:59], s[2:3], v[34:35]
	v_add_f64 v[10:11], v[10:11], v[30:31]
	v_add_f64 v[4:5], v[4:5], v[6:7]
	v_add_f64 v[98:99], v[44:45], -v[32:33]
	v_add_f64 v[104:105], v[32:33], -v[44:45]
	v_add_f64 v[12:13], v[12:13], v[14:15]
	v_add_f64 v[14:15], v[54:55], v[56:57]
	;; [unrolled: 1-line block ×3, first 2 shown]
	v_fma_f64 v[6:7], v[50:51], s[2:3], v[8:9]
	v_fma_f64 v[20:21], v[52:53], s[18:19], v[2:3]
	;; [unrolled: 1-line block ×4, first 2 shown]
	s_mov_b32 s10, 0x9b97f4a8
	s_mov_b32 s11, 0xbfe9e377
	;; [unrolled: 1-line block ×3, first 2 shown]
	v_fma_f64 v[26:27], v[46:47], s[8:9], v[26:27]
	v_fma_f64 v[84:85], v[38:39], s[8:9], v[90:91]
	;; [unrolled: 1-line block ×4, first 2 shown]
	v_fma_f64 v[42:43], v[92:93], -0.5, v[0:1]
	v_fma_f64 v[0:1], v[94:95], -0.5, v[0:1]
	v_fma_f64 v[30:31], v[68:69], s[20:21], v[72:73]
	v_fma_f64 v[56:57], v[58:59], s[20:21], v[78:79]
	;; [unrolled: 1-line block ×4, first 2 shown]
	s_mov_b32 s23, 0x3fe9e377
	s_mov_b32 s16, s0
	;; [unrolled: 1-line block ×3, first 2 shown]
	v_add_f64 v[18:19], v[18:19], v[66:67]
	v_add_f64 v[10:11], v[10:11], v[60:61]
	;; [unrolled: 1-line block ×6, first 2 shown]
	v_fma_f64 v[6:7], v[52:53], s[8:9], v[6:7]
	v_fma_f64 v[20:21], v[50:51], s[8:9], v[20:21]
	;; [unrolled: 1-line block ×11, first 2 shown]
	v_add_f64 v[70:71], v[96:97], v[98:99]
	v_fma_f64 v[8:9], v[52:53], s[20:21], v[8:9]
	v_fma_f64 v[24:25], v[14:15], s[0:1], v[30:31]
	;; [unrolled: 1-line block ×5, first 2 shown]
	v_add_f64 v[18:19], v[18:19], v[64:65]
	v_add_f64 v[10:11], v[10:11], v[62:63]
	;; [unrolled: 1-line block ×4, first 2 shown]
	v_fma_f64 v[28:29], v[12:13], s[0:1], v[6:7]
	v_fma_f64 v[20:21], v[46:47], s[0:1], v[20:21]
	;; [unrolled: 1-line block ×3, first 2 shown]
	v_mul_f64 v[34:35], v[26:27], s[10:11]
	v_mul_f64 v[36:37], v[58:59], s[16:17]
	;; [unrolled: 1-line block ×5, first 2 shown]
	v_fma_f64 v[54:55], v[22:23], s[20:21], v[68:69]
	v_fma_f64 v[0:1], v[22:23], s[8:9], v[0:1]
	;; [unrolled: 1-line block ×3, first 2 shown]
	v_mul_f64 v[38:39], v[38:39], s[2:3]
	v_mul_f64 v[42:43], v[58:59], s[2:3]
	v_fma_f64 v[48:49], v[100:101], s[20:21], v[48:49]
	v_mul_f64 v[26:27], v[26:27], s[8:9]
	v_fma_f64 v[8:9], v[12:13], s[0:1], v[8:9]
	v_add_f64 v[6:7], v[18:19], v[10:11]
	v_add_f64 v[2:3], v[18:19], -v[10:11]
	v_fma_f64 v[12:13], v[24:25], s[20:21], v[34:35]
	v_fma_f64 v[34:35], v[30:31], s[18:19], v[36:37]
	;; [unrolled: 1-line block ×12, first 2 shown]
	v_add_f64 v[0:1], v[16:17], -v[4:5]
	v_add_f64 v[4:5], v[16:17], v[4:5]
	v_add_f64 v[10:11], v[28:29], -v[12:13]
	v_add_f64 v[14:15], v[20:21], -v[34:35]
	;; [unrolled: 1-line block ×3, first 2 shown]
	v_add_f64 v[30:31], v[20:21], v[34:35]
	v_add_f64 v[34:35], v[44:45], v[36:37]
	;; [unrolled: 1-line block ×7, first 2 shown]
	v_add_f64 v[22:23], v[8:9], -v[46:47]
	v_add_f64 v[24:25], v[48:49], v[58:59]
	v_add_f64 v[20:21], v[54:55], -v[40:41]
	v_add_f64 v[16:17], v[52:53], -v[56:57]
	;; [unrolled: 1-line block ×4, first 2 shown]
	ds_write_b128 v237, v[4:7]
	ds_write_b128 v237, v[0:3] offset:5280
	ds_write_b128 v237, v[36:39] offset:1056
	;; [unrolled: 1-line block ×9, first 2 shown]
.LBB0_21:
	s_or_b32 exec_lo, exec_lo, s24
	s_waitcnt lgkmcnt(0)
	s_barrier
	buffer_gl0_inv
	s_and_b32 exec_lo, exec_lo, vcc_lo
	s_cbranch_execz .LBB0_23
; %bb.22:
	v_add_co_u32 v28, s0, s14, v237
	v_add_co_ci_u32_e64 v29, null, s15, 0, s0
	global_load_dwordx4 v[0:3], v237, s[14:15]
	v_add_co_u32 v16, vcc_lo, 0x800, v28
	v_add_co_ci_u32_e32 v17, vcc_lo, 0, v29, vcc_lo
	v_add_co_u32 v24, vcc_lo, 0x1000, v28
	v_add_co_ci_u32_e32 v25, vcc_lo, 0, v29, vcc_lo
	;; [unrolled: 2-line block ×3, first 2 shown]
	v_add_co_u32 v40, vcc_lo, 0x2000, v28
	s_clause 0x5
	global_load_dwordx4 v[4:7], v237, s[14:15] offset:960
	global_load_dwordx4 v[8:11], v237, s[14:15] offset:1920
	global_load_dwordx4 v[12:15], v[16:17], off offset:832
	global_load_dwordx4 v[16:19], v[16:17], off offset:1792
	;; [unrolled: 1-line block ×4, first 2 shown]
	v_add_co_ci_u32_e32 v41, vcc_lo, 0, v29, vcc_lo
	s_clause 0x3
	global_load_dwordx4 v[28:31], v[32:33], off offset:576
	global_load_dwordx4 v[32:35], v[32:33], off offset:1536
	;; [unrolled: 1-line block ×4, first 2 shown]
	v_mad_u64_u32 v[44:45], null, s6, v116, 0
	v_mad_u64_u32 v[46:47], null, s4, v238, 0
	s_mul_i32 s2, s5, 0x3c0
	s_mul_hi_u32 s3, s4, 0x3c0
	s_mulk_i32 s4, 0x3c0
	s_add_i32 s3, s3, s2
	s_mov_b32 s0, 0x8d3018d3
	s_mov_b32 s1, 0x3f58d301
	v_mad_u64_u32 v[48:49], null, s7, v116, v[45:46]
	v_mad_u64_u32 v[49:50], null, s5, v238, v[47:48]
	v_mov_b32_e32 v45, v48
	v_lshlrev_b64 v[44:45], 4, v[44:45]
	v_mov_b32_e32 v47, v49
	v_lshlrev_b64 v[46:47], 4, v[46:47]
	v_add_co_u32 v44, vcc_lo, s12, v44
	v_add_co_ci_u32_e32 v45, vcc_lo, s13, v45, vcc_lo
	v_add_co_u32 v88, vcc_lo, v44, v46
	v_add_co_ci_u32_e32 v89, vcc_lo, v45, v47, vcc_lo
	ds_read_b128 v[44:47], v237
	ds_read_b128 v[48:51], v237 offset:960
	ds_read_b128 v[52:55], v237 offset:1920
	;; [unrolled: 1-line block ×10, first 2 shown]
	v_add_co_u32 v90, vcc_lo, v88, s4
	v_add_co_ci_u32_e32 v91, vcc_lo, s3, v89, vcc_lo
	v_add_co_u32 v92, vcc_lo, v90, s4
	v_add_co_ci_u32_e32 v93, vcc_lo, s3, v91, vcc_lo
	;; [unrolled: 2-line block ×7, first 2 shown]
	s_waitcnt vmcnt(10) lgkmcnt(10)
	v_mul_f64 v[104:105], v[46:47], v[2:3]
	v_mul_f64 v[2:3], v[44:45], v[2:3]
	s_waitcnt vmcnt(9) lgkmcnt(9)
	v_mul_f64 v[106:107], v[50:51], v[6:7]
	v_mul_f64 v[6:7], v[48:49], v[6:7]
	;; [unrolled: 3-line block ×11, first 2 shown]
	v_fma_f64 v[44:45], v[44:45], v[0:1], v[104:105]
	v_fma_f64 v[2:3], v[0:1], v[46:47], -v[2:3]
	v_fma_f64 v[46:47], v[48:49], v[4:5], v[106:107]
	v_fma_f64 v[6:7], v[4:5], v[50:51], -v[6:7]
	;; [unrolled: 2-line block ×11, first 2 shown]
	v_mul_f64 v[0:1], v[44:45], s[0:1]
	v_mul_f64 v[2:3], v[2:3], s[0:1]
	;; [unrolled: 1-line block ×22, first 2 shown]
	v_add_co_u32 v44, vcc_lo, v102, s4
	v_add_co_ci_u32_e32 v45, vcc_lo, s3, v103, vcc_lo
	v_add_co_u32 v46, vcc_lo, v44, s4
	v_add_co_ci_u32_e32 v47, vcc_lo, s3, v45, vcc_lo
	v_add_co_u32 v48, vcc_lo, v46, s4
	v_add_co_ci_u32_e32 v49, vcc_lo, s3, v47, vcc_lo
	global_store_dwordx4 v[88:89], v[0:3], off
	global_store_dwordx4 v[90:91], v[4:7], off
	;; [unrolled: 1-line block ×11, first 2 shown]
.LBB0_23:
	s_endpgm
	.section	.rodata,"a",@progbits
	.p2align	6, 0x0
	.amdhsa_kernel bluestein_single_fwd_len660_dim1_dp_op_CI_CI
		.amdhsa_group_segment_fixed_size 10560
		.amdhsa_private_segment_fixed_size 0
		.amdhsa_kernarg_size 104
		.amdhsa_user_sgpr_count 6
		.amdhsa_user_sgpr_private_segment_buffer 1
		.amdhsa_user_sgpr_dispatch_ptr 0
		.amdhsa_user_sgpr_queue_ptr 0
		.amdhsa_user_sgpr_kernarg_segment_ptr 1
		.amdhsa_user_sgpr_dispatch_id 0
		.amdhsa_user_sgpr_flat_scratch_init 0
		.amdhsa_user_sgpr_private_segment_size 0
		.amdhsa_wavefront_size32 1
		.amdhsa_uses_dynamic_stack 0
		.amdhsa_system_sgpr_private_segment_wavefront_offset 0
		.amdhsa_system_sgpr_workgroup_id_x 1
		.amdhsa_system_sgpr_workgroup_id_y 0
		.amdhsa_system_sgpr_workgroup_id_z 0
		.amdhsa_system_sgpr_workgroup_info 0
		.amdhsa_system_vgpr_workitem_id 0
		.amdhsa_next_free_vgpr 254
		.amdhsa_next_free_sgpr 40
		.amdhsa_reserve_vcc 1
		.amdhsa_reserve_flat_scratch 0
		.amdhsa_float_round_mode_32 0
		.amdhsa_float_round_mode_16_64 0
		.amdhsa_float_denorm_mode_32 3
		.amdhsa_float_denorm_mode_16_64 3
		.amdhsa_dx10_clamp 1
		.amdhsa_ieee_mode 1
		.amdhsa_fp16_overflow 0
		.amdhsa_workgroup_processor_mode 1
		.amdhsa_memory_ordered 1
		.amdhsa_forward_progress 0
		.amdhsa_shared_vgpr_count 0
		.amdhsa_exception_fp_ieee_invalid_op 0
		.amdhsa_exception_fp_denorm_src 0
		.amdhsa_exception_fp_ieee_div_zero 0
		.amdhsa_exception_fp_ieee_overflow 0
		.amdhsa_exception_fp_ieee_underflow 0
		.amdhsa_exception_fp_ieee_inexact 0
		.amdhsa_exception_int_div_zero 0
	.end_amdhsa_kernel
	.text
.Lfunc_end0:
	.size	bluestein_single_fwd_len660_dim1_dp_op_CI_CI, .Lfunc_end0-bluestein_single_fwd_len660_dim1_dp_op_CI_CI
                                        ; -- End function
	.section	.AMDGPU.csdata,"",@progbits
; Kernel info:
; codeLenInByte = 14860
; NumSgprs: 42
; NumVgprs: 254
; ScratchSize: 0
; MemoryBound: 0
; FloatMode: 240
; IeeeMode: 1
; LDSByteSize: 10560 bytes/workgroup (compile time only)
; SGPRBlocks: 5
; VGPRBlocks: 31
; NumSGPRsForWavesPerEU: 42
; NumVGPRsForWavesPerEU: 254
; Occupancy: 4
; WaveLimiterHint : 1
; COMPUTE_PGM_RSRC2:SCRATCH_EN: 0
; COMPUTE_PGM_RSRC2:USER_SGPR: 6
; COMPUTE_PGM_RSRC2:TRAP_HANDLER: 0
; COMPUTE_PGM_RSRC2:TGID_X_EN: 1
; COMPUTE_PGM_RSRC2:TGID_Y_EN: 0
; COMPUTE_PGM_RSRC2:TGID_Z_EN: 0
; COMPUTE_PGM_RSRC2:TIDIG_COMP_CNT: 0
	.text
	.p2alignl 6, 3214868480
	.fill 48, 4, 3214868480
	.type	__hip_cuid_d6b28e371b6e8154,@object ; @__hip_cuid_d6b28e371b6e8154
	.section	.bss,"aw",@nobits
	.globl	__hip_cuid_d6b28e371b6e8154
__hip_cuid_d6b28e371b6e8154:
	.byte	0                               ; 0x0
	.size	__hip_cuid_d6b28e371b6e8154, 1

	.ident	"AMD clang version 19.0.0git (https://github.com/RadeonOpenCompute/llvm-project roc-6.4.0 25133 c7fe45cf4b819c5991fe208aaa96edf142730f1d)"
	.section	".note.GNU-stack","",@progbits
	.addrsig
	.addrsig_sym __hip_cuid_d6b28e371b6e8154
	.amdgpu_metadata
---
amdhsa.kernels:
  - .args:
      - .actual_access:  read_only
        .address_space:  global
        .offset:         0
        .size:           8
        .value_kind:     global_buffer
      - .actual_access:  read_only
        .address_space:  global
        .offset:         8
        .size:           8
        .value_kind:     global_buffer
      - .actual_access:  read_only
        .address_space:  global
        .offset:         16
        .size:           8
        .value_kind:     global_buffer
      - .actual_access:  read_only
        .address_space:  global
        .offset:         24
        .size:           8
        .value_kind:     global_buffer
      - .actual_access:  read_only
        .address_space:  global
        .offset:         32
        .size:           8
        .value_kind:     global_buffer
      - .offset:         40
        .size:           8
        .value_kind:     by_value
      - .address_space:  global
        .offset:         48
        .size:           8
        .value_kind:     global_buffer
      - .address_space:  global
        .offset:         56
        .size:           8
        .value_kind:     global_buffer
      - .address_space:  global
        .offset:         64
        .size:           8
        .value_kind:     global_buffer
      - .address_space:  global
        .offset:         72
        .size:           8
        .value_kind:     global_buffer
      - .offset:         80
        .size:           4
        .value_kind:     by_value
      - .address_space:  global
        .offset:         88
        .size:           8
        .value_kind:     global_buffer
      - .address_space:  global
        .offset:         96
        .size:           8
        .value_kind:     global_buffer
    .group_segment_fixed_size: 10560
    .kernarg_segment_align: 8
    .kernarg_segment_size: 104
    .language:       OpenCL C
    .language_version:
      - 2
      - 0
    .max_flat_workgroup_size: 110
    .name:           bluestein_single_fwd_len660_dim1_dp_op_CI_CI
    .private_segment_fixed_size: 0
    .sgpr_count:     42
    .sgpr_spill_count: 0
    .symbol:         bluestein_single_fwd_len660_dim1_dp_op_CI_CI.kd
    .uniform_work_group_size: 1
    .uses_dynamic_stack: false
    .vgpr_count:     254
    .vgpr_spill_count: 0
    .wavefront_size: 32
    .workgroup_processor_mode: 1
amdhsa.target:   amdgcn-amd-amdhsa--gfx1030
amdhsa.version:
  - 1
  - 2
...

	.end_amdgpu_metadata
